;; amdgpu-corpus repo=ROCm/rocFFT kind=compiled arch=gfx906 opt=O3
	.text
	.amdgcn_target "amdgcn-amd-amdhsa--gfx906"
	.amdhsa_code_object_version 6
	.protected	fft_rtc_fwd_len672_factors_2_2_2_2_2_3_7_wgs_56_tpt_56_halfLds_dp_ip_CI_unitstride_sbrr_dirReg ; -- Begin function fft_rtc_fwd_len672_factors_2_2_2_2_2_3_7_wgs_56_tpt_56_halfLds_dp_ip_CI_unitstride_sbrr_dirReg
	.globl	fft_rtc_fwd_len672_factors_2_2_2_2_2_3_7_wgs_56_tpt_56_halfLds_dp_ip_CI_unitstride_sbrr_dirReg
	.p2align	8
	.type	fft_rtc_fwd_len672_factors_2_2_2_2_2_3_7_wgs_56_tpt_56_halfLds_dp_ip_CI_unitstride_sbrr_dirReg,@function
fft_rtc_fwd_len672_factors_2_2_2_2_2_3_7_wgs_56_tpt_56_halfLds_dp_ip_CI_unitstride_sbrr_dirReg: ; @fft_rtc_fwd_len672_factors_2_2_2_2_2_3_7_wgs_56_tpt_56_halfLds_dp_ip_CI_unitstride_sbrr_dirReg
; %bb.0:
	s_load_dwordx2 s[2:3], s[4:5], 0x50
	s_load_dwordx4 s[8:11], s[4:5], 0x0
	s_load_dwordx2 s[12:13], s[4:5], 0x18
	v_mul_u32_u24_e32 v1, 0x493, v0
	v_add_u32_sdwa v5, s6, v1 dst_sel:DWORD dst_unused:UNUSED_PAD src0_sel:DWORD src1_sel:WORD_1
	v_mov_b32_e32 v3, 0
	s_waitcnt lgkmcnt(0)
	v_cmp_lt_u64_e64 s[0:1], s[10:11], 2
	v_mov_b32_e32 v1, 0
	v_mov_b32_e32 v6, v3
	s_and_b64 vcc, exec, s[0:1]
	v_mov_b32_e32 v2, 0
	s_cbranch_vccnz .LBB0_8
; %bb.1:
	s_load_dwordx2 s[0:1], s[4:5], 0x10
	s_add_u32 s6, s12, 8
	s_addc_u32 s7, s13, 0
	v_mov_b32_e32 v1, 0
	v_mov_b32_e32 v2, 0
	s_waitcnt lgkmcnt(0)
	s_add_u32 s14, s0, 8
	s_addc_u32 s15, s1, 0
	s_mov_b64 s[16:17], 1
.LBB0_2:                                ; =>This Inner Loop Header: Depth=1
	s_load_dwordx2 s[18:19], s[14:15], 0x0
                                        ; implicit-def: $vgpr7_vgpr8
	s_waitcnt lgkmcnt(0)
	v_or_b32_e32 v4, s19, v6
	v_cmp_ne_u64_e32 vcc, 0, v[3:4]
	s_and_saveexec_b64 s[0:1], vcc
	s_xor_b64 s[20:21], exec, s[0:1]
	s_cbranch_execz .LBB0_4
; %bb.3:                                ;   in Loop: Header=BB0_2 Depth=1
	v_cvt_f32_u32_e32 v4, s18
	v_cvt_f32_u32_e32 v7, s19
	s_sub_u32 s0, 0, s18
	s_subb_u32 s1, 0, s19
	v_mac_f32_e32 v4, 0x4f800000, v7
	v_rcp_f32_e32 v4, v4
	v_mul_f32_e32 v4, 0x5f7ffffc, v4
	v_mul_f32_e32 v7, 0x2f800000, v4
	v_trunc_f32_e32 v7, v7
	v_mac_f32_e32 v4, 0xcf800000, v7
	v_cvt_u32_f32_e32 v7, v7
	v_cvt_u32_f32_e32 v4, v4
	v_mul_lo_u32 v8, s0, v7
	v_mul_hi_u32 v9, s0, v4
	v_mul_lo_u32 v11, s1, v4
	v_mul_lo_u32 v10, s0, v4
	v_add_u32_e32 v8, v9, v8
	v_add_u32_e32 v8, v8, v11
	v_mul_hi_u32 v9, v4, v10
	v_mul_lo_u32 v11, v4, v8
	v_mul_hi_u32 v13, v4, v8
	v_mul_hi_u32 v12, v7, v10
	v_mul_lo_u32 v10, v7, v10
	v_mul_hi_u32 v14, v7, v8
	v_add_co_u32_e32 v9, vcc, v9, v11
	v_addc_co_u32_e32 v11, vcc, 0, v13, vcc
	v_mul_lo_u32 v8, v7, v8
	v_add_co_u32_e32 v9, vcc, v9, v10
	v_addc_co_u32_e32 v9, vcc, v11, v12, vcc
	v_addc_co_u32_e32 v10, vcc, 0, v14, vcc
	v_add_co_u32_e32 v8, vcc, v9, v8
	v_addc_co_u32_e32 v9, vcc, 0, v10, vcc
	v_add_co_u32_e32 v4, vcc, v4, v8
	v_addc_co_u32_e32 v7, vcc, v7, v9, vcc
	v_mul_lo_u32 v8, s0, v7
	v_mul_hi_u32 v9, s0, v4
	v_mul_lo_u32 v10, s1, v4
	v_mul_lo_u32 v11, s0, v4
	v_add_u32_e32 v8, v9, v8
	v_add_u32_e32 v8, v8, v10
	v_mul_lo_u32 v12, v4, v8
	v_mul_hi_u32 v13, v4, v11
	v_mul_hi_u32 v14, v4, v8
	;; [unrolled: 1-line block ×3, first 2 shown]
	v_mul_lo_u32 v11, v7, v11
	v_mul_hi_u32 v9, v7, v8
	v_add_co_u32_e32 v12, vcc, v13, v12
	v_addc_co_u32_e32 v13, vcc, 0, v14, vcc
	v_mul_lo_u32 v8, v7, v8
	v_add_co_u32_e32 v11, vcc, v12, v11
	v_addc_co_u32_e32 v10, vcc, v13, v10, vcc
	v_addc_co_u32_e32 v9, vcc, 0, v9, vcc
	v_add_co_u32_e32 v8, vcc, v10, v8
	v_addc_co_u32_e32 v9, vcc, 0, v9, vcc
	v_add_co_u32_e32 v4, vcc, v4, v8
	v_addc_co_u32_e32 v9, vcc, v7, v9, vcc
	v_mad_u64_u32 v[7:8], s[0:1], v5, v9, 0
	v_mul_hi_u32 v10, v5, v4
	v_add_co_u32_e32 v11, vcc, v10, v7
	v_addc_co_u32_e32 v12, vcc, 0, v8, vcc
	v_mad_u64_u32 v[7:8], s[0:1], v6, v4, 0
	v_mad_u64_u32 v[9:10], s[0:1], v6, v9, 0
	v_add_co_u32_e32 v4, vcc, v11, v7
	v_addc_co_u32_e32 v4, vcc, v12, v8, vcc
	v_addc_co_u32_e32 v7, vcc, 0, v10, vcc
	v_add_co_u32_e32 v4, vcc, v4, v9
	v_addc_co_u32_e32 v9, vcc, 0, v7, vcc
	v_mul_lo_u32 v10, s19, v4
	v_mul_lo_u32 v11, s18, v9
	v_mad_u64_u32 v[7:8], s[0:1], s18, v4, 0
	v_add3_u32 v8, v8, v11, v10
	v_sub_u32_e32 v10, v6, v8
	v_mov_b32_e32 v11, s19
	v_sub_co_u32_e32 v7, vcc, v5, v7
	v_subb_co_u32_e64 v10, s[0:1], v10, v11, vcc
	v_subrev_co_u32_e64 v11, s[0:1], s18, v7
	v_subbrev_co_u32_e64 v10, s[0:1], 0, v10, s[0:1]
	v_cmp_le_u32_e64 s[0:1], s19, v10
	v_cndmask_b32_e64 v12, 0, -1, s[0:1]
	v_cmp_le_u32_e64 s[0:1], s18, v11
	v_cndmask_b32_e64 v11, 0, -1, s[0:1]
	v_cmp_eq_u32_e64 s[0:1], s19, v10
	v_cndmask_b32_e64 v10, v12, v11, s[0:1]
	v_add_co_u32_e64 v11, s[0:1], 2, v4
	v_addc_co_u32_e64 v12, s[0:1], 0, v9, s[0:1]
	v_add_co_u32_e64 v13, s[0:1], 1, v4
	v_addc_co_u32_e64 v14, s[0:1], 0, v9, s[0:1]
	v_subb_co_u32_e32 v8, vcc, v6, v8, vcc
	v_cmp_ne_u32_e64 s[0:1], 0, v10
	v_cmp_le_u32_e32 vcc, s19, v8
	v_cndmask_b32_e64 v10, v14, v12, s[0:1]
	v_cndmask_b32_e64 v12, 0, -1, vcc
	v_cmp_le_u32_e32 vcc, s18, v7
	v_cndmask_b32_e64 v7, 0, -1, vcc
	v_cmp_eq_u32_e32 vcc, s19, v8
	v_cndmask_b32_e32 v7, v12, v7, vcc
	v_cmp_ne_u32_e32 vcc, 0, v7
	v_cndmask_b32_e64 v7, v13, v11, s[0:1]
	v_cndmask_b32_e32 v8, v9, v10, vcc
	v_cndmask_b32_e32 v7, v4, v7, vcc
.LBB0_4:                                ;   in Loop: Header=BB0_2 Depth=1
	s_andn2_saveexec_b64 s[0:1], s[20:21]
	s_cbranch_execz .LBB0_6
; %bb.5:                                ;   in Loop: Header=BB0_2 Depth=1
	v_cvt_f32_u32_e32 v4, s18
	s_sub_i32 s20, 0, s18
	v_rcp_iflag_f32_e32 v4, v4
	v_mul_f32_e32 v4, 0x4f7ffffe, v4
	v_cvt_u32_f32_e32 v4, v4
	v_mul_lo_u32 v7, s20, v4
	v_mul_hi_u32 v7, v4, v7
	v_add_u32_e32 v4, v4, v7
	v_mul_hi_u32 v4, v5, v4
	v_mul_lo_u32 v7, v4, s18
	v_add_u32_e32 v8, 1, v4
	v_sub_u32_e32 v7, v5, v7
	v_subrev_u32_e32 v9, s18, v7
	v_cmp_le_u32_e32 vcc, s18, v7
	v_cndmask_b32_e32 v7, v7, v9, vcc
	v_cndmask_b32_e32 v4, v4, v8, vcc
	v_add_u32_e32 v8, 1, v4
	v_cmp_le_u32_e32 vcc, s18, v7
	v_cndmask_b32_e32 v7, v4, v8, vcc
	v_mov_b32_e32 v8, v3
.LBB0_6:                                ;   in Loop: Header=BB0_2 Depth=1
	s_or_b64 exec, exec, s[0:1]
	v_mul_lo_u32 v4, v8, s18
	v_mul_lo_u32 v11, v7, s19
	v_mad_u64_u32 v[9:10], s[0:1], v7, s18, 0
	s_load_dwordx2 s[0:1], s[6:7], 0x0
	s_add_u32 s16, s16, 1
	v_add3_u32 v4, v10, v11, v4
	v_sub_co_u32_e32 v5, vcc, v5, v9
	v_subb_co_u32_e32 v4, vcc, v6, v4, vcc
	s_waitcnt lgkmcnt(0)
	v_mul_lo_u32 v4, s0, v4
	v_mul_lo_u32 v6, s1, v5
	v_mad_u64_u32 v[1:2], s[0:1], s0, v5, v[1:2]
	s_addc_u32 s17, s17, 0
	s_add_u32 s6, s6, 8
	v_add3_u32 v2, v6, v2, v4
	v_mov_b32_e32 v4, s10
	v_mov_b32_e32 v5, s11
	s_addc_u32 s7, s7, 0
	v_cmp_ge_u64_e32 vcc, s[16:17], v[4:5]
	s_add_u32 s14, s14, 8
	s_addc_u32 s15, s15, 0
	s_cbranch_vccnz .LBB0_9
; %bb.7:                                ;   in Loop: Header=BB0_2 Depth=1
	v_mov_b32_e32 v5, v7
	v_mov_b32_e32 v6, v8
	s_branch .LBB0_2
.LBB0_8:
	v_mov_b32_e32 v8, v6
	v_mov_b32_e32 v7, v5
.LBB0_9:
	s_lshl_b64 s[0:1], s[10:11], 3
	s_add_u32 s0, s12, s0
	s_addc_u32 s1, s13, s1
	s_load_dwordx2 s[6:7], s[0:1], 0x0
	s_load_dwordx2 s[10:11], s[4:5], 0x20
                                        ; implicit-def: $vgpr42_vgpr43
                                        ; implicit-def: $vgpr22_vgpr23
                                        ; implicit-def: $vgpr38_vgpr39
                                        ; implicit-def: $vgpr14_vgpr15
                                        ; implicit-def: $vgpr26_vgpr27
                                        ; implicit-def: $vgpr10_vgpr11
                                        ; implicit-def: $vgpr30_vgpr31
                                        ; implicit-def: $vgpr18_vgpr19
                                        ; implicit-def: $vgpr34_vgpr35
                                        ; implicit-def: $vgpr46_vgpr47
	s_waitcnt lgkmcnt(0)
	v_mad_u64_u32 v[1:2], s[0:1], s6, v7, v[1:2]
	v_mul_lo_u32 v3, s6, v8
	v_mul_lo_u32 v4, s7, v7
	s_mov_b32 s0, 0x4924925
	v_mul_hi_u32 v5, v0, s0
	v_cmp_gt_u64_e32 vcc, s[10:11], v[7:8]
	v_add3_u32 v2, v4, v2, v3
	v_lshlrev_b64 v[50:51], 4, v[1:2]
	v_mul_u32_u24_e32 v3, 56, v5
	v_sub_u32_e32 v48, v0, v3
                                        ; implicit-def: $vgpr2_vgpr3
                                        ; implicit-def: $vgpr6_vgpr7
	s_and_saveexec_b64 s[4:5], vcc
	s_cbranch_execz .LBB0_11
; %bb.10:
	v_mov_b32_e32 v49, 0
	v_mov_b32_e32 v0, s3
	v_add_co_u32_e64 v10, s[0:1], s2, v50
	v_addc_co_u32_e64 v11, s[0:1], v0, v51, s[0:1]
	v_lshlrev_b64 v[0:1], 4, v[48:49]
	v_or_b32_e32 v8, 0x1c0, v48
	v_add_co_u32_e64 v52, s[0:1], v10, v0
	v_addc_co_u32_e64 v53, s[0:1], v11, v1, s[0:1]
	s_movk_i32 s0, 0x1000
	v_mov_b32_e32 v9, v49
	v_add_co_u32_e64 v54, s[0:1], s0, v52
	v_lshlrev_b64 v[8:9], 4, v[8:9]
	v_addc_co_u32_e64 v55, s[0:1], 0, v53, s[0:1]
	v_add_co_u32_e64 v56, s[0:1], v10, v8
	v_addc_co_u32_e64 v57, s[0:1], v11, v9, s[0:1]
	s_movk_i32 s0, 0x2000
	v_add_co_u32_e64 v58, s[0:1], s0, v52
	global_load_dwordx4 v[4:7], v[52:53], off
	global_load_dwordx4 v[0:3], v[52:53], off offset:896
	v_addc_co_u32_e64 v59, s[0:1], 0, v53, s[0:1]
	global_load_dwordx4 v[16:19], v[52:53], off offset:1792
	global_load_dwordx4 v[8:11], v[52:53], off offset:2688
	global_load_dwordx4 v[44:47], v[54:55], off offset:1280
	global_load_dwordx4 v[32:35], v[54:55], off offset:2176
	global_load_dwordx4 v[28:31], v[56:57], off
	global_load_dwordx4 v[24:27], v[54:55], off offset:3968
	global_load_dwordx4 v[12:15], v[52:53], off offset:3584
	;; [unrolled: 1-line block ×5, first 2 shown]
.LBB0_11:
	s_or_b64 exec, exec, s[4:5]
	s_waitcnt vmcnt(4)
	v_add_f64 v[66:67], v[8:9], -v[24:25]
	s_waitcnt vmcnt(0)
	v_add_f64 v[75:76], v[20:21], -v[40:41]
	v_add_f64 v[70:71], v[12:13], -v[36:37]
	;; [unrolled: 1-line block ×7, first 2 shown]
	v_fma_f64 v[64:65], v[8:9], 2.0, -v[66:67]
	v_add_f64 v[8:9], v[2:3], -v[34:35]
	v_fma_f64 v[73:74], v[20:21], 2.0, -v[75:76]
	v_add_f64 v[20:21], v[18:19], -v[30:31]
	v_fma_f64 v[68:69], v[12:13], 2.0, -v[70:71]
	v_add_f64 v[12:13], v[10:11], -v[26:27]
	v_fma_f64 v[60:61], v[16:17], 2.0, -v[62:63]
	v_add_f64 v[16:17], v[14:15], -v[38:39]
	v_fma_f64 v[52:53], v[4:5], 2.0, -v[54:55]
	v_fma_f64 v[56:57], v[0:1], 2.0, -v[58:59]
	;; [unrolled: 1-line block ×6, first 2 shown]
	v_add_u32_e32 v0, 0xa8, v48
	v_fma_f64 v[14:15], v[14:15], 2.0, -v[16:17]
	v_lshl_add_u32 v77, v48, 4, 0
	v_add_u32_e32 v72, 56, v48
	v_lshl_add_u32 v78, v0, 4, 0
	v_add_u32_e32 v5, 0x118, v48
	v_lshlrev_b32_e32 v4, 3, v48
	v_fma_f64 v[22:23], v[22:23], 2.0, -v[24:25]
	v_lshl_add_u32 v40, v72, 4, 0
	ds_write_b128 v77, v[52:55]
	ds_write_b128 v40, v[56:59]
	v_add_u32_e32 v1, 0x70, v48
	ds_write_b128 v78, v[64:67]
	v_add_u32_e32 v64, 0xe0, v48
	v_lshl_add_u32 v66, v5, 4, 0
	v_sub_u32_e32 v49, v77, v4
	v_and_b32_e32 v91, 1, v48
	v_lshl_add_u32 v41, v1, 4, 0
	v_lshl_add_u32 v65, v64, 4, 0
	ds_write_b128 v66, v[73:76]
	v_add_u32_e32 v73, 0x800, v49
	v_lshlrev_b32_e32 v2, 4, v91
	ds_write_b128 v41, v[60:63]
	ds_write_b128 v65, v[68:71]
	s_waitcnt lgkmcnt(0)
	; wave barrier
	s_waitcnt lgkmcnt(0)
	v_add_u32_e32 v74, 0x400, v49
	v_add_u32_e32 v4, 0x1000, v49
	ds_read2_b64 v[52:55], v49 offset1:56
	ds_read2_b64 v[56:59], v73 offset0:80 offset1:136
	ds_read2_b64 v[60:63], v49 offset0:112 offset1:168
	;; [unrolled: 1-line block ×5, first 2 shown]
	s_waitcnt lgkmcnt(0)
	; wave barrier
	s_waitcnt lgkmcnt(0)
	ds_write_b128 v77, v[44:47]
	ds_write_b128 v40, v[6:9]
	;; [unrolled: 1-line block ×6, first 2 shown]
	s_waitcnt lgkmcnt(0)
	; wave barrier
	s_waitcnt lgkmcnt(0)
	global_load_dwordx4 v[10:13], v2, s[8:9]
	v_lshlrev_b32_e32 v2, 1, v48
	s_movk_i32 s0, 0x7c
	s_movk_i32 s1, 0xfc
	s_movk_i32 s4, 0x1fc
	v_and_or_b32 v14, v2, s0, v91
	v_lshlrev_b32_e32 v3, 1, v72
	v_lshlrev_b32_e32 v6, 1, v1
	v_lshl_add_u32 v92, v14, 3, 0
	v_and_or_b32 v14, v3, s1, v91
	v_and_or_b32 v15, v6, s4, v91
	v_lshlrev_b32_e32 v7, 1, v64
	v_lshl_add_u32 v93, v14, 3, 0
	v_lshl_add_u32 v94, v15, 3, 0
	ds_read2_b64 v[14:17], v73 offset0:80 offset1:136
	ds_read2_b64 v[18:21], v73 offset0:192 offset1:248
	;; [unrolled: 1-line block ×3, first 2 shown]
	ds_read2_b64 v[38:41], v49 offset1:56
	ds_read2_b64 v[42:45], v49 offset0:112 offset1:168
	ds_read2_b64 v[64:67], v74 offset0:96 offset1:152
	s_waitcnt lgkmcnt(0)
	; wave barrier
	s_waitcnt lgkmcnt(0)
	v_lshlrev_b32_e32 v8, 1, v0
	s_movk_i32 s0, 0x3fc
	v_lshlrev_b32_e32 v9, 1, v5
	s_movk_i32 s1, 0xf8
	s_movk_i32 s5, 0x3f8
	;; [unrolled: 1-line block ×3, first 2 shown]
	v_and_b32_e32 v5, 15, v5
	v_and_b32_e32 v117, 31, v0
	s_mov_b32 s7, 0xbfebb67a
	s_waitcnt vmcnt(0)
	v_mul_f64 v[46:47], v[14:15], v[12:13]
	v_mul_f64 v[68:69], v[16:17], v[12:13]
	;; [unrolled: 1-line block ×8, first 2 shown]
	v_fma_f64 v[46:47], v[56:57], v[10:11], -v[46:47]
	v_mul_f64 v[70:71], v[56:57], v[12:13]
	v_fma_f64 v[56:57], v[58:59], v[10:11], -v[68:69]
	v_fma_f64 v[26:27], v[26:27], v[10:11], -v[77:78]
	v_mul_f64 v[83:84], v[28:29], v[12:13]
	v_mul_f64 v[89:90], v[34:35], v[12:13]
	;; [unrolled: 1-line block ×3, first 2 shown]
	v_fma_f64 v[58:59], v[16:17], v[10:11], v[75:76]
	v_fma_f64 v[16:17], v[28:29], v[10:11], -v[79:80]
	v_fma_f64 v[28:29], v[18:19], v[10:11], v[81:82]
	v_fma_f64 v[18:19], v[34:35], v[10:11], -v[85:86]
	v_fma_f64 v[34:35], v[36:37], v[10:11], -v[87:88]
	v_add_f64 v[36:37], v[52:53], -v[46:47]
	v_add_f64 v[46:47], v[54:55], -v[56:57]
	;; [unrolled: 1-line block ×3, first 2 shown]
	v_fma_f64 v[14:15], v[14:15], v[10:11], v[70:71]
	v_fma_f64 v[68:69], v[22:23], v[10:11], v[89:90]
	;; [unrolled: 1-line block ×3, first 2 shown]
	v_add_f64 v[16:17], v[62:63], -v[16:17]
	v_add_f64 v[20:21], v[32:33], -v[34:35]
	v_fma_f64 v[22:23], v[52:53], 2.0, -v[36:37]
	v_fma_f64 v[34:35], v[54:55], 2.0, -v[46:47]
	;; [unrolled: 1-line block ×3, first 2 shown]
	v_fma_f64 v[54:55], v[24:25], v[10:11], v[12:13]
	v_add_f64 v[18:19], v[30:31], -v[18:19]
	v_add_f64 v[60:61], v[38:39], -v[14:15]
	ds_write2_b64 v92, v[22:23], v[36:37] offset1:2
	ds_write2_b64 v93, v[34:35], v[46:47] offset1:2
	;; [unrolled: 1-line block ×3, first 2 shown]
	v_add_f64 v[34:35], v[40:41], -v[58:59]
	v_add_f64 v[36:37], v[42:43], -v[28:29]
	v_add_f64 v[46:47], v[44:45], -v[56:57]
	v_add_f64 v[52:53], v[64:65], -v[68:69]
	v_fma_f64 v[10:11], v[62:63], 2.0, -v[16:17]
	v_add_f64 v[54:55], v[66:67], -v[54:55]
	v_fma_f64 v[12:13], v[30:31], 2.0, -v[18:19]
	v_fma_f64 v[14:15], v[32:33], 2.0, -v[20:21]
	;; [unrolled: 1-line block ×5, first 2 shown]
	v_and_or_b32 v22, v8, s4, v91
	v_fma_f64 v[44:45], v[44:45], 2.0, -v[46:47]
	v_lshl_add_u32 v62, v22, 3, 0
	v_fma_f64 v[56:57], v[64:65], 2.0, -v[52:53]
	ds_write2_b64 v62, v[10:11], v[16:17] offset1:2
	v_and_or_b32 v10, v7, s0, v91
	s_movk_i32 s0, 0x2fc
	v_fma_f64 v[58:59], v[66:67], 2.0, -v[54:55]
	v_lshl_add_u32 v63, v10, 3, 0
	v_and_or_b32 v10, v9, s0, v91
	v_lshl_add_u32 v70, v10, 3, 0
	ds_write2_b64 v63, v[12:13], v[18:19] offset1:2
	ds_write2_b64 v70, v[14:15], v[20:21] offset1:2
	s_waitcnt lgkmcnt(0)
	; wave barrier
	s_waitcnt lgkmcnt(0)
	ds_read2_b64 v[10:13], v49 offset1:56
	ds_read2_b64 v[14:17], v73 offset0:80 offset1:136
	ds_read2_b64 v[18:21], v49 offset0:112 offset1:168
	;; [unrolled: 1-line block ×5, first 2 shown]
	s_waitcnt lgkmcnt(0)
	; wave barrier
	s_waitcnt lgkmcnt(0)
	ds_write2_b64 v92, v[38:39], v[60:61] offset1:2
	ds_write2_b64 v93, v[40:41], v[34:35] offset1:2
	;; [unrolled: 1-line block ×6, first 2 shown]
	v_and_b32_e32 v38, 3, v48
	v_lshlrev_b32_e32 v34, 4, v38
	s_waitcnt lgkmcnt(0)
	; wave barrier
	s_waitcnt lgkmcnt(0)
	global_load_dwordx4 v[34:37], v34, s[8:9] offset:32
	s_movk_i32 s0, 0x78
	s_movk_i32 s4, 0x1f8
	v_and_or_b32 v39, v2, s0, v38
	v_lshl_add_u32 v91, v39, 3, 0
	v_and_or_b32 v39, v3, s1, v38
	v_and_or_b32 v40, v6, s4, v38
	;; [unrolled: 1-line block ×5, first 2 shown]
	v_lshl_add_u32 v92, v39, 3, 0
	v_lshl_add_u32 v93, v40, 3, 0
	;; [unrolled: 1-line block ×5, first 2 shown]
	ds_read2_b64 v[38:41], v73 offset0:80 offset1:136
	ds_read2_b64 v[42:45], v73 offset0:192 offset1:248
	;; [unrolled: 1-line block ×3, first 2 shown]
	ds_read2_b64 v[56:59], v49 offset1:56
	ds_read2_b64 v[60:63], v49 offset0:112 offset1:168
	ds_read2_b64 v[64:67], v74 offset0:96 offset1:152
	s_waitcnt lgkmcnt(0)
	; wave barrier
	s_waitcnt lgkmcnt(0)
	s_movk_i32 s0, 0x70
	s_movk_i32 s1, 0xf0
	;; [unrolled: 1-line block ×5, first 2 shown]
	s_waitcnt vmcnt(0)
	v_mul_f64 v[46:47], v[38:39], v[36:37]
	v_mul_f64 v[70:71], v[14:15], v[36:37]
	v_mul_f64 v[68:69], v[40:41], v[36:37]
	v_mul_f64 v[75:76], v[16:17], v[36:37]
	v_mul_f64 v[77:78], v[42:43], v[36:37]
	v_mul_f64 v[81:82], v[22:23], v[36:37]
	v_mul_f64 v[79:80], v[44:45], v[36:37]
	v_mul_f64 v[83:84], v[24:25], v[36:37]
	v_mul_f64 v[85:86], v[52:53], v[36:37]
	v_mul_f64 v[89:90], v[30:31], v[36:37]
	v_mul_f64 v[87:88], v[54:55], v[36:37]
	v_mul_f64 v[36:37], v[32:33], v[36:37]
	v_fma_f64 v[14:15], v[14:15], v[34:35], -v[46:47]
	v_fma_f64 v[38:39], v[38:39], v[34:35], v[70:71]
	v_fma_f64 v[16:17], v[16:17], v[34:35], -v[68:69]
	v_fma_f64 v[40:41], v[40:41], v[34:35], v[75:76]
	;; [unrolled: 2-line block ×6, first 2 shown]
	v_add_f64 v[14:15], v[10:11], -v[14:15]
	v_add_f64 v[36:37], v[56:57], -v[38:39]
	;; [unrolled: 1-line block ×12, first 2 shown]
	v_fma_f64 v[10:11], v[10:11], 2.0, -v[14:15]
	v_fma_f64 v[46:47], v[56:57], 2.0, -v[36:37]
	;; [unrolled: 1-line block ×12, first 2 shown]
	ds_write2_b64 v91, v[10:11], v[14:15] offset1:4
	ds_write2_b64 v92, v[12:13], v[16:17] offset1:4
	;; [unrolled: 1-line block ×6, first 2 shown]
	s_waitcnt lgkmcnt(0)
	; wave barrier
	s_waitcnt lgkmcnt(0)
	ds_read2_b64 v[10:13], v49 offset1:56
	ds_read2_b64 v[14:17], v73 offset0:80 offset1:136
	ds_read2_b64 v[18:21], v49 offset0:112 offset1:168
	;; [unrolled: 1-line block ×5, first 2 shown]
	s_waitcnt lgkmcnt(0)
	; wave barrier
	s_waitcnt lgkmcnt(0)
	ds_write2_b64 v91, v[46:47], v[36:37] offset1:4
	ds_write2_b64 v92, v[52:53], v[38:39] offset1:4
	;; [unrolled: 1-line block ×6, first 2 shown]
	v_and_b32_e32 v38, 7, v48
	v_lshlrev_b32_e32 v34, 4, v38
	s_waitcnt lgkmcnt(0)
	; wave barrier
	s_waitcnt lgkmcnt(0)
	global_load_dwordx4 v[34:37], v34, s[8:9] offset:96
	v_and_or_b32 v39, v2, s0, v38
	v_lshl_add_u32 v91, v39, 3, 0
	v_and_or_b32 v39, v3, s1, v38
	v_and_or_b32 v40, v6, s4, v38
	;; [unrolled: 1-line block ×5, first 2 shown]
	v_lshl_add_u32 v92, v39, 3, 0
	v_lshl_add_u32 v93, v40, 3, 0
	;; [unrolled: 1-line block ×5, first 2 shown]
	ds_read2_b64 v[38:41], v73 offset0:80 offset1:136
	ds_read2_b64 v[42:45], v73 offset0:192 offset1:248
	ds_read2_b64 v[52:55], v4 offset0:48 offset1:104
	ds_read2_b64 v[56:59], v49 offset1:56
	ds_read2_b64 v[60:63], v49 offset0:112 offset1:168
	ds_read2_b64 v[64:67], v74 offset0:96 offset1:152
	s_waitcnt lgkmcnt(0)
	; wave barrier
	s_waitcnt lgkmcnt(0)
	s_movk_i32 s0, 0x60
	s_movk_i32 s4, 0x1e0
	;; [unrolled: 1-line block ×5, first 2 shown]
	s_waitcnt vmcnt(0)
	v_mul_f64 v[46:47], v[38:39], v[36:37]
	v_mul_f64 v[70:71], v[14:15], v[36:37]
	;; [unrolled: 1-line block ×12, first 2 shown]
	v_fma_f64 v[14:15], v[14:15], v[34:35], -v[46:47]
	v_fma_f64 v[38:39], v[38:39], v[34:35], v[70:71]
	v_fma_f64 v[16:17], v[16:17], v[34:35], -v[68:69]
	v_fma_f64 v[40:41], v[40:41], v[34:35], v[75:76]
	;; [unrolled: 2-line block ×6, first 2 shown]
	v_add_f64 v[14:15], v[10:11], -v[14:15]
	v_add_f64 v[36:37], v[56:57], -v[38:39]
	;; [unrolled: 1-line block ×12, first 2 shown]
	v_fma_f64 v[10:11], v[10:11], 2.0, -v[14:15]
	v_fma_f64 v[46:47], v[56:57], 2.0, -v[36:37]
	v_fma_f64 v[12:13], v[12:13], 2.0, -v[16:17]
	v_fma_f64 v[52:53], v[58:59], 2.0, -v[38:39]
	v_fma_f64 v[18:19], v[18:19], 2.0, -v[22:23]
	v_fma_f64 v[54:55], v[60:61], 2.0, -v[40:41]
	v_fma_f64 v[20:21], v[20:21], 2.0, -v[24:25]
	v_fma_f64 v[56:57], v[62:63], 2.0, -v[42:43]
	v_fma_f64 v[26:27], v[26:27], 2.0, -v[30:31]
	v_fma_f64 v[58:59], v[64:65], 2.0, -v[44:45]
	v_fma_f64 v[28:29], v[28:29], 2.0, -v[32:33]
	v_fma_f64 v[60:61], v[66:67], 2.0, -v[34:35]
	ds_write2_b64 v91, v[10:11], v[14:15] offset1:8
	ds_write2_b64 v92, v[12:13], v[16:17] offset1:8
	;; [unrolled: 1-line block ×6, first 2 shown]
	s_waitcnt lgkmcnt(0)
	; wave barrier
	s_waitcnt lgkmcnt(0)
	ds_read2_b64 v[10:13], v49 offset1:56
	ds_read2_b64 v[14:17], v73 offset0:80 offset1:136
	ds_read2_b64 v[18:21], v49 offset0:112 offset1:168
	;; [unrolled: 1-line block ×5, first 2 shown]
	s_waitcnt lgkmcnt(0)
	; wave barrier
	s_waitcnt lgkmcnt(0)
	ds_write2_b64 v91, v[46:47], v[36:37] offset1:8
	ds_write2_b64 v92, v[52:53], v[38:39] offset1:8
	;; [unrolled: 1-line block ×6, first 2 shown]
	v_and_b32_e32 v52, 15, v0
	v_and_b32_e32 v53, 15, v48
	v_lshlrev_b32_e32 v34, 4, v52
	v_lshlrev_b32_e32 v38, 4, v53
	s_waitcnt lgkmcnt(0)
	; wave barrier
	s_waitcnt lgkmcnt(0)
	global_load_dwordx4 v[34:37], v34, s[8:9] offset:224
	v_lshlrev_b32_e32 v54, 4, v5
	global_load_dwordx4 v[38:41], v38, s[8:9] offset:224
	s_nop 0
	global_load_dwordx2 v[46:47], v54, s[8:9] offset:232
	global_load_dwordx4 v[42:45], v54, s[8:9] offset:224
	v_and_b32_e32 v54, 15, v72
	v_lshlrev_b32_e32 v55, 4, v54
	global_load_dwordx2 v[75:76], v55, s[8:9] offset:224
	v_and_or_b32 v2, v2, s0, v53
	v_and_or_b32 v6, v6, s4, v53
	v_and_or_b32 v7, v7, s5, v53
	v_and_or_b32 v5, v9, s6, v5
	v_lshl_add_u32 v91, v2, 3, 0
	v_and_or_b32 v2, v3, s1, v54
	v_and_or_b32 v3, v8, s4, v52
	v_lshl_add_u32 v93, v6, 3, 0
	v_lshl_add_u32 v95, v7, 3, 0
	v_lshl_add_u32 v96, v5, 3, 0
	ds_read2_b64 v[5:8], v73 offset0:192 offset1:248
	ds_read2_b64 v[52:55], v73 offset0:80 offset1:136
	;; [unrolled: 1-line block ×3, first 2 shown]
	ds_read2_b64 v[60:63], v49 offset1:56
	ds_read2_b64 v[64:67], v49 offset0:112 offset1:168
	ds_read2_b64 v[68:71], v74 offset0:96 offset1:152
	v_lshl_add_u32 v92, v2, 3, 0
	v_lshl_add_u32 v94, v3, 3, 0
	s_waitcnt lgkmcnt(0)
	; wave barrier
	s_waitcnt lgkmcnt(0)
	v_lshrrev_b32_e32 v0, 5, v0
	v_mul_u32_u24_e32 v118, 0x60, v0
	s_mov_b32 s4, 0xe8584caa
	s_mov_b32 s5, 0x3febb67a
	;; [unrolled: 1-line block ×3, first 2 shown]
	v_cmp_gt_u32_e64 s[0:1], 40, v48
	s_waitcnt vmcnt(4)
	v_mul_f64 v[2:3], v[7:8], v[36:37]
	v_mul_f64 v[36:37], v[24:25], v[36:37]
	s_waitcnt vmcnt(3)
	v_mul_f64 v[81:82], v[52:53], v[40:41]
	s_waitcnt vmcnt(1)
	v_mul_f64 v[89:90], v[54:55], v[44:45]
	v_mul_f64 v[77:78], v[5:6], v[40:41]
	;; [unrolled: 1-line block ×8, first 2 shown]
	v_fma_f64 v[14:15], v[14:15], v[38:39], -v[81:82]
	s_waitcnt vmcnt(0)
	v_fma_f64 v[16:17], v[16:17], v[75:76], -v[89:90]
	v_fma_f64 v[22:23], v[22:23], v[38:39], -v[77:78]
	;; [unrolled: 1-line block ×3, first 2 shown]
	v_mul_f64 v[46:47], v[32:33], v[46:47]
	v_fma_f64 v[30:31], v[30:31], v[38:39], -v[85:86]
	v_fma_f64 v[32:33], v[32:33], v[42:43], -v[87:88]
	v_fma_f64 v[24:25], v[52:53], v[38:39], v[83:84]
	v_fma_f64 v[7:8], v[7:8], v[34:35], v[36:37]
	;; [unrolled: 1-line block ×5, first 2 shown]
	v_add_f64 v[14:15], v[10:11], -v[14:15]
	v_add_f64 v[16:17], v[12:13], -v[16:17]
	v_add_f64 v[22:23], v[18:19], -v[22:23]
	v_add_f64 v[2:3], v[20:21], -v[2:3]
	v_fma_f64 v[36:37], v[58:59], v[42:43], v[46:47]
	v_add_f64 v[30:31], v[26:27], -v[30:31]
	v_add_f64 v[32:33], v[28:29], -v[32:33]
	;; [unrolled: 1-line block ×5, first 2 shown]
	v_fma_f64 v[5:6], v[10:11], 2.0, -v[14:15]
	v_add_f64 v[44:45], v[66:67], -v[7:8]
	v_fma_f64 v[7:8], v[12:13], 2.0, -v[16:17]
	v_fma_f64 v[9:10], v[18:19], 2.0, -v[22:23]
	v_add_f64 v[46:47], v[68:69], -v[34:35]
	v_fma_f64 v[11:12], v[20:21], 2.0, -v[2:3]
	;; [unrolled: 3-line block ×3, first 2 shown]
	v_fma_f64 v[52:53], v[60:61], 2.0, -v[40:41]
	ds_write2_b64 v91, v[5:6], v[14:15] offset1:16
	ds_write2_b64 v92, v[7:8], v[16:17] offset1:16
	;; [unrolled: 1-line block ×6, first 2 shown]
	v_fma_f64 v[2:3], v[62:63], 2.0, -v[38:39]
	v_fma_f64 v[9:10], v[64:65], 2.0, -v[42:43]
	;; [unrolled: 1-line block ×5, first 2 shown]
	s_waitcnt lgkmcnt(0)
	; wave barrier
	s_waitcnt lgkmcnt(0)
	ds_read2_b64 v[5:8], v49 offset1:56
	ds_read2_b64 v[20:23], v74 offset0:96 offset1:152
	ds_read2_b64 v[24:27], v73 offset0:192 offset1:248
	;; [unrolled: 1-line block ×5, first 2 shown]
	s_waitcnt lgkmcnt(0)
	; wave barrier
	s_waitcnt lgkmcnt(0)
	ds_write2_b64 v91, v[52:53], v[40:41] offset1:16
	ds_write2_b64 v92, v[2:3], v[38:39] offset1:16
	ds_write2_b64 v93, v[9:10], v[42:43] offset1:16
	ds_write2_b64 v94, v[11:12], v[44:45] offset1:16
	ds_write2_b64 v95, v[13:14], v[46:47] offset1:16
	ds_write2_b64 v96, v[15:16], v[36:37] offset1:16
	v_and_b32_e32 v2, 31, v48
	v_and_b32_e32 v9, 31, v72
	v_lshlrev_b32_e32 v3, 5, v2
	v_lshlrev_b32_e32 v10, 5, v9
	s_waitcnt lgkmcnt(0)
	; wave barrier
	s_waitcnt lgkmcnt(0)
	global_load_dwordx4 v[36:39], v3, s[8:9] offset:480
	global_load_dwordx4 v[40:43], v10, s[8:9] offset:480
	;; [unrolled: 1-line block ×4, first 2 shown]
	v_and_b32_e32 v3, 31, v1
	v_lshlrev_b32_e32 v10, 5, v3
	v_lshlrev_b32_e32 v11, 5, v117
	global_load_dwordx4 v[58:61], v10, s[8:9] offset:480
	global_load_dwordx4 v[81:84], v11, s[8:9] offset:480
	;; [unrolled: 1-line block ×4, first 2 shown]
	v_lshrrev_b32_e32 v10, 5, v48
	v_mul_u32_u24_e32 v10, 0x60, v10
	v_lshrrev_b32_e32 v11, 5, v72
	v_lshrrev_b32_e32 v1, 5, v1
	v_or_b32_e32 v2, v10, v2
	v_mul_u32_u24_e32 v10, 0x60, v11
	v_mul_u32_u24_e32 v1, 0x60, v1
	v_or_b32_e32 v0, v10, v9
	v_lshl_add_u32 v75, v2, 3, 0
	v_or_b32_e32 v119, v1, v3
	v_lshl_add_u32 v76, v0, 3, 0
	ds_read2_b64 v[0:3], v74 offset0:96 offset1:152
	ds_read2_b64 v[89:92], v73 offset0:192 offset1:248
	;; [unrolled: 1-line block ×4, first 2 shown]
	ds_read2_b64 v[16:19], v49 offset1:56
	ds_read2_b64 v[12:15], v49 offset0:112 offset1:168
	s_waitcnt lgkmcnt(0)
	; wave barrier
	s_waitcnt vmcnt(6) lgkmcnt(0)
	v_mul_f64 v[52:53], v[2:3], v[42:43]
	v_mul_f64 v[9:10], v[0:1], v[38:39]
	s_waitcnt vmcnt(5)
	v_mul_f64 v[101:102], v[89:90], v[46:47]
	v_mul_f64 v[38:39], v[20:21], v[38:39]
	;; [unrolled: 1-line block ×4, first 2 shown]
	s_waitcnt vmcnt(4)
	v_mul_f64 v[103:104], v[91:92], v[79:80]
	s_waitcnt vmcnt(3)
	v_mul_f64 v[105:106], v[93:94], v[60:61]
	;; [unrolled: 2-line block ×4, first 2 shown]
	v_mul_f64 v[113:114], v[54:55], v[70:71]
	s_waitcnt vmcnt(0)
	v_mul_f64 v[115:116], v[99:100], v[87:88]
	v_fma_f64 v[64:65], v[20:21], v[36:37], -v[9:10]
	v_fma_f64 v[70:71], v[24:25], v[44:45], -v[101:102]
	v_mul_f64 v[79:80], v[26:27], v[79:80]
	v_mul_f64 v[107:108], v[32:33], v[60:61]
	;; [unrolled: 1-line block ×4, first 2 shown]
	v_fma_f64 v[66:67], v[0:1], v[36:37], v[38:39]
	v_fma_f64 v[60:61], v[22:23], v[40:41], -v[52:53]
	v_fma_f64 v[62:63], v[2:3], v[40:41], v[42:43]
	v_fma_f64 v[36:37], v[89:90], v[44:45], v[46:47]
	v_fma_f64 v[42:43], v[32:33], v[58:59], -v[105:106]
	v_fma_f64 v[46:47], v[54:55], v[68:69], -v[111:112]
	v_fma_f64 v[20:21], v[97:98], v[68:69], v[113:114]
	v_fma_f64 v[68:69], v[26:27], v[77:78], -v[103:104]
	v_fma_f64 v[40:41], v[34:35], v[81:82], -v[109:110]
	;; [unrolled: 1-line block ×3, first 2 shown]
	v_add_f64 v[24:25], v[64:65], v[70:71]
	v_fma_f64 v[58:59], v[93:94], v[58:59], v[107:108]
	v_fma_f64 v[38:39], v[91:92], v[77:78], v[79:80]
	;; [unrolled: 1-line block ×4, first 2 shown]
	v_add_f64 v[0:1], v[42:43], v[46:47]
	v_add_f64 v[9:10], v[5:6], v[64:65]
	;; [unrolled: 1-line block ×4, first 2 shown]
	v_add_f64 v[26:27], v[66:67], -v[36:37]
	v_add_f64 v[34:35], v[7:8], v[60:61]
	v_fma_f64 v[24:25], v[24:25], -0.5, v[5:6]
	v_add_f64 v[2:3], v[58:59], -v[20:21]
	v_add_f64 v[52:53], v[62:63], -v[38:39]
	v_add_f64 v[77:78], v[28:29], v[42:43]
	v_add_f64 v[79:80], v[30:31], v[40:41]
	v_add_f64 v[81:82], v[54:55], -v[22:23]
	v_fma_f64 v[28:29], v[0:1], -0.5, v[28:29]
	v_fma_f64 v[0:1], v[32:33], -0.5, v[7:8]
	v_add_f64 v[10:11], v[9:10], v[70:71]
	v_fma_f64 v[8:9], v[56:57], -0.5, v[30:31]
	v_add_f64 v[32:33], v[34:35], v[68:69]
	v_fma_f64 v[34:35], v[26:27], s[4:5], v[24:25]
	v_fma_f64 v[24:25], v[26:27], s[6:7], v[24:25]
	v_add_f64 v[30:31], v[77:78], v[46:47]
	v_add_f64 v[4:5], v[79:80], v[44:45]
	v_fma_f64 v[26:27], v[52:53], s[4:5], v[0:1]
	v_fma_f64 v[52:53], v[52:53], s[6:7], v[0:1]
	;; [unrolled: 1-line block ×6, first 2 shown]
	ds_write2_b64 v75, v[10:11], v[34:35] offset1:32
	ds_write_b64 v75, v[24:25] offset:512
	ds_write2_b64 v76, v[32:33], v[26:27] offset1:32
	ds_write_b64 v76, v[52:53] offset:512
	v_or_b32_e32 v10, v118, v117
	v_lshl_add_u32 v77, v119, 3, 0
	v_lshl_add_u32 v78, v10, 3, 0
	ds_write2_b64 v77, v[30:31], v[0:1] offset1:32
	ds_write_b64 v77, v[2:3] offset:512
	ds_write2_b64 v78, v[4:5], v[6:7] offset1:32
	ds_write_b64 v78, v[8:9] offset:512
	s_waitcnt lgkmcnt(0)
	; wave barrier
	s_waitcnt lgkmcnt(0)
	ds_read_b64 v[56:57], v49 offset:4608
	ds_read2_b64 v[24:27], v49 offset1:96
	ds_read2_b64 v[32:35], v74 offset0:64 offset1:160
	ds_read2_b64 v[28:31], v73 offset0:128 offset1:224
                                        ; implicit-def: $vgpr52_vgpr53
	s_and_saveexec_b64 s[10:11], s[0:1]
	s_cbranch_execz .LBB0_13
; %bb.12:
	v_add_u32_e32 v8, 0xc00, v49
	ds_read2_b64 v[0:3], v49 offset0:56 offset1:152
	ds_read2_b64 v[4:7], v74 offset0:120 offset1:216
	;; [unrolled: 1-line block ×3, first 2 shown]
	ds_read_b64 v[52:53], v49 offset:5056
.LBB0_13:
	s_or_b64 exec, exec, s[10:11]
	v_add_f64 v[79:80], v[66:67], v[36:37]
	v_add_f64 v[64:65], v[64:65], -v[70:71]
	v_add_f64 v[70:71], v[18:19], v[62:63]
	v_add_f64 v[62:63], v[62:63], v[38:39]
	v_add_f64 v[60:61], v[60:61], -v[68:69]
	v_add_f64 v[68:69], v[58:59], v[20:21]
	v_add_f64 v[66:67], v[16:17], v[66:67]
	v_add_f64 v[58:59], v[12:13], v[58:59]
	v_fma_f64 v[16:17], v[79:80], -0.5, v[16:17]
	v_add_f64 v[79:80], v[54:55], v[22:23]
	v_add_f64 v[42:43], v[42:43], -v[46:47]
	v_fma_f64 v[18:19], v[62:63], -0.5, v[18:19]
	v_add_f64 v[46:47], v[14:15], v[54:55]
	v_fma_f64 v[54:55], v[68:69], -0.5, v[12:13]
	v_add_f64 v[36:37], v[66:67], v[36:37]
	v_add_f64 v[40:41], v[40:41], -v[44:45]
	v_fma_f64 v[62:63], v[64:65], s[6:7], v[16:17]
	v_fma_f64 v[66:67], v[79:80], -0.5, v[14:15]
	v_fma_f64 v[64:65], v[64:65], s[4:5], v[16:17]
	v_add_f64 v[38:39], v[70:71], v[38:39]
	v_fma_f64 v[44:45], v[60:61], s[6:7], v[18:19]
	v_fma_f64 v[60:61], v[60:61], s[4:5], v[18:19]
	v_add_f64 v[58:59], v[58:59], v[20:21]
	v_fma_f64 v[12:13], v[42:43], s[6:7], v[54:55]
	;; [unrolled: 3-line block ×3, first 2 shown]
	v_fma_f64 v[20:21], v[40:41], s[4:5], v[66:67]
	s_waitcnt lgkmcnt(0)
	; wave barrier
	s_waitcnt lgkmcnt(0)
	ds_write2_b64 v75, v[36:37], v[62:63] offset1:32
	ds_write_b64 v75, v[64:65] offset:512
	ds_write2_b64 v76, v[38:39], v[44:45] offset1:32
	ds_write_b64 v76, v[60:61] offset:512
	ds_write2_b64 v77, v[58:59], v[12:13] offset1:32
	ds_write_b64 v77, v[14:15] offset:512
	ds_write2_b64 v78, v[16:17], v[18:19] offset1:32
	ds_write_b64 v78, v[20:21] offset:512
	s_waitcnt lgkmcnt(0)
	; wave barrier
	s_waitcnt lgkmcnt(0)
	ds_read2_b64 v[36:39], v49 offset1:96
	ds_read2_b64 v[40:43], v74 offset0:64 offset1:160
	ds_read2_b64 v[44:47], v73 offset0:128 offset1:224
	ds_read_b64 v[58:59], v49 offset:4608
                                        ; implicit-def: $vgpr54_vgpr55
	s_and_saveexec_b64 s[4:5], s[0:1]
	s_cbranch_execz .LBB0_15
; %bb.14:
	v_add_u32_e32 v16, 0x400, v49
	v_add_u32_e32 v20, 0xc00, v49
	ds_read2_b64 v[12:15], v49 offset0:56 offset1:152
	ds_read2_b64 v[16:19], v16 offset0:120 offset1:216
	ds_read2_b64 v[20:23], v20 offset0:56 offset1:152
	ds_read_b64 v[54:55], v49 offset:5056
.LBB0_15:
	s_or_b64 exec, exec, s[4:5]
	s_and_saveexec_b64 s[4:5], vcc
	s_cbranch_execz .LBB0_18
; %bb.16:
	v_mul_u32_u24_e32 v49, 6, v48
	v_lshlrev_b32_e32 v49, 4, v49
	global_load_dwordx4 v[60:63], v49, s[8:9] offset:1584
	global_load_dwordx4 v[64:67], v49, s[8:9] offset:1504
	global_load_dwordx4 v[68:71], v49, s[8:9] offset:1536
	global_load_dwordx4 v[73:76], v49, s[8:9] offset:1520
	global_load_dwordx4 v[77:80], v49, s[8:9] offset:1552
	global_load_dwordx4 v[81:84], v49, s[8:9] offset:1568
	s_mov_b32 s10, 0xe976ee23
	s_mov_b32 s16, 0x37e14327
	;; [unrolled: 1-line block ×20, first 2 shown]
	v_mov_b32_e32 v49, 0
	v_mov_b32_e32 v86, s3
	v_add_co_u32_e32 v99, vcc, s2, v50
	v_addc_co_u32_e32 v100, vcc, v86, v51, vcc
	v_lshlrev_b64 v[50:51], 4, v[48:49]
	s_movk_i32 s3, 0x1000
	v_add_co_u32_e32 v50, vcc, v99, v50
	v_addc_co_u32_e32 v51, vcc, v100, v51, vcc
	v_or_b32_e32 v85, 0x180, v48
	v_mov_b32_e32 v86, v49
	v_lshlrev_b64 v[85:86], 4, v[85:86]
	s_waitcnt vmcnt(5) lgkmcnt(0)
	v_mul_f64 v[87:88], v[58:59], v[62:63]
	v_mul_f64 v[62:63], v[56:57], v[62:63]
	s_waitcnt vmcnt(4)
	v_mul_f64 v[89:90], v[38:39], v[66:67]
	s_waitcnt vmcnt(3)
	;; [unrolled: 2-line block ×5, first 2 shown]
	v_mul_f64 v[97:98], v[46:47], v[83:84]
	v_mul_f64 v[66:67], v[26:27], v[66:67]
	;; [unrolled: 1-line block ×6, first 2 shown]
	v_fma_f64 v[56:57], v[56:57], v[60:61], -v[87:88]
	v_fma_f64 v[58:59], v[58:59], v[60:61], v[62:63]
	v_fma_f64 v[34:35], v[34:35], v[68:69], -v[91:92]
	v_fma_f64 v[32:33], v[32:33], v[73:74], -v[93:94]
	;; [unrolled: 1-line block ×5, first 2 shown]
	v_fma_f64 v[38:39], v[38:39], v[64:65], v[66:67]
	v_fma_f64 v[46:47], v[46:47], v[81:82], v[83:84]
	;; [unrolled: 1-line block ×5, first 2 shown]
	v_add_f64 v[64:65], v[28:29], -v[34:35]
	v_add_f64 v[66:67], v[32:33], -v[30:31]
	;; [unrolled: 1-line block ×3, first 2 shown]
	v_add_f64 v[68:69], v[38:39], v[58:59]
	v_add_f64 v[56:57], v[60:61], v[56:57]
	;; [unrolled: 1-line block ×6, first 2 shown]
	v_add_f64 v[32:33], v[38:39], -v[58:59]
	v_add_f64 v[34:35], v[44:45], -v[42:43]
	;; [unrolled: 1-line block ×5, first 2 shown]
	v_add_f64 v[44:45], v[64:65], v[66:67]
	v_add_f64 v[46:47], v[68:69], v[70:71]
	;; [unrolled: 1-line block ×3, first 2 shown]
	v_add_f64 v[58:59], v[68:69], -v[73:74]
	v_add_f64 v[60:61], v[73:74], -v[70:71]
	v_add_f64 v[75:76], v[56:57], -v[28:29]
	v_add_f64 v[77:78], v[28:29], -v[30:31]
	v_add_f64 v[79:80], v[32:33], -v[34:35]
	v_add_f64 v[81:82], v[34:35], -v[38:39]
	v_add_f64 v[34:35], v[34:35], v[38:39]
	v_add_f64 v[66:67], v[66:67], -v[62:63]
	v_add_f64 v[46:47], v[73:74], v[46:47]
	v_add_f64 v[64:65], v[28:29], v[64:65]
	v_add_f64 v[38:39], v[38:39], -v[32:33]
	v_add_f64 v[68:69], v[70:71], -v[68:69]
	;; [unrolled: 1-line block ×3, first 2 shown]
	v_mul_f64 v[42:43], v[42:43], s[10:11]
	v_add_f64 v[44:45], v[62:63], v[44:45]
	v_mul_f64 v[62:63], v[58:59], s[16:17]
	v_mul_f64 v[60:61], v[60:61], s[14:15]
	;; [unrolled: 1-line block ×5, first 2 shown]
	v_add_f64 v[32:33], v[32:33], v[34:35]
	v_mul_f64 v[34:35], v[66:67], s[18:19]
	v_add_f64 v[30:31], v[36:37], v[46:47]
	v_add_f64 v[28:29], v[24:25], v[64:65]
	v_mul_f64 v[81:82], v[38:39], s[18:19]
	v_fma_f64 v[83:84], v[40:41], s[6:7], v[42:43]
	v_fma_f64 v[36:37], v[58:59], s[16:17], v[60:61]
	;; [unrolled: 1-line block ×4, first 2 shown]
	v_fma_f64 v[34:35], v[40:41], s[20:21], -v[34:35]
	v_fma_f64 v[40:41], v[68:69], s[22:23], -v[62:63]
	;; [unrolled: 1-line block ×6, first 2 shown]
	v_fma_f64 v[46:47], v[46:47], s[12:13], v[30:31]
	v_fma_f64 v[38:39], v[38:39], s[18:19], -v[77:78]
	v_fma_f64 v[64:65], v[64:65], s[12:13], v[28:29]
	v_fma_f64 v[70:71], v[79:80], s[20:21], -v[81:82]
	v_fma_f64 v[66:67], v[44:45], s[4:5], v[83:84]
	v_fma_f64 v[58:59], v[32:33], s[4:5], v[58:59]
	;; [unrolled: 1-line block ×4, first 2 shown]
	v_add_f64 v[36:37], v[36:37], v[46:47]
	v_add_f64 v[60:61], v[60:61], v[46:47]
	v_fma_f64 v[75:76], v[32:33], s[4:5], v[38:39]
	v_add_f64 v[24:25], v[24:25], v[64:65]
	v_add_f64 v[56:57], v[56:57], v[64:65]
	v_fma_f64 v[70:71], v[32:33], s[4:5], v[70:71]
	v_add_f64 v[44:45], v[40:41], v[46:47]
	v_add_f64 v[62:63], v[62:63], v[64:65]
	global_store_dwordx4 v[50:51], v[28:31], off
	v_add_f64 v[42:43], v[36:37], -v[66:67]
	v_add_f64 v[30:31], v[66:67], v[36:37]
	v_add_f64 v[40:41], v[58:59], v[24:25]
	v_add_f64 v[32:33], v[56:57], -v[75:76]
	v_add_f64 v[28:29], v[24:25], -v[58:59]
	;; [unrolled: 1-line block ×3, first 2 shown]
	v_add_f64 v[56:57], v[75:76], v[56:57]
	v_add_f64 v[38:39], v[44:45], -v[68:69]
	v_add_f64 v[36:37], v[70:71], v[62:63]
	v_add_f64 v[46:47], v[68:69], v[44:45]
	v_add_f64 v[44:45], v[62:63], -v[70:71]
	v_add_f64 v[34:35], v[73:74], v[60:61]
	v_add_co_u32_e32 v26, vcc, s3, v50
	v_addc_co_u32_e32 v27, vcc, 0, v51, vcc
	v_add_co_u32_e32 v24, vcc, v99, v85
	v_addc_co_u32_e32 v25, vcc, v100, v86, vcc
	global_store_dwordx4 v[50:51], v[40:43], off offset:1536
	global_store_dwordx4 v[50:51], v[36:39], off offset:3072
	;; [unrolled: 1-line block ×3, first 2 shown]
	global_store_dwordx4 v[24:25], v[56:59], off
	global_store_dwordx4 v[26:27], v[44:47], off offset:3584
	v_add_co_u32_e32 v24, vcc, 0x2000, v50
	v_addc_co_u32_e32 v25, vcc, 0, v51, vcc
	global_store_dwordx4 v[24:25], v[28:31], off offset:1024
	s_and_b64 exec, exec, s[0:1]
	s_cbranch_execz .LBB0_18
; %bb.17:
	v_subrev_u32_e32 v24, 40, v48
	v_cndmask_b32_e64 v24, v24, v72, s[0:1]
	v_mul_i32_i24_e32 v48, 6, v24
	v_lshlrev_b64 v[24:25], 4, v[48:49]
	v_mov_b32_e32 v28, s9
	v_add_co_u32_e32 v24, vcc, s8, v24
	v_addc_co_u32_e32 v25, vcc, v28, v25, vcc
	global_load_dwordx4 v[28:31], v[24:25], off offset:1504
	global_load_dwordx4 v[32:35], v[24:25], off offset:1520
	;; [unrolled: 1-line block ×6, first 2 shown]
	s_waitcnt vmcnt(5)
	v_mul_f64 v[24:25], v[14:15], v[30:31]
	v_mul_f64 v[30:31], v[2:3], v[30:31]
	s_waitcnt vmcnt(4)
	v_mul_f64 v[48:49], v[16:17], v[34:35]
	v_mul_f64 v[34:35], v[4:5], v[34:35]
	;; [unrolled: 3-line block ×4, first 2 shown]
	v_mul_f64 v[60:61], v[18:19], v[38:39]
	v_mul_f64 v[38:39], v[6:7], v[38:39]
	v_mul_f64 v[62:63], v[20:21], v[42:43]
	v_mul_f64 v[42:43], v[8:9], v[42:43]
	v_fma_f64 v[2:3], v[2:3], v[28:29], -v[24:25]
	v_fma_f64 v[14:15], v[14:15], v[28:29], v[30:31]
	v_fma_f64 v[4:5], v[4:5], v[32:33], -v[48:49]
	v_fma_f64 v[16:17], v[16:17], v[32:33], v[34:35]
	;; [unrolled: 2-line block ×6, first 2 shown]
	v_add_f64 v[30:31], v[2:3], v[24:25]
	v_add_f64 v[32:33], v[14:15], v[28:29]
	v_add_f64 v[2:3], v[2:3], -v[24:25]
	v_add_f64 v[14:15], v[14:15], -v[28:29]
	v_add_f64 v[24:25], v[4:5], v[10:11]
	v_add_f64 v[28:29], v[16:17], v[22:23]
	v_add_f64 v[4:5], v[4:5], -v[10:11]
	v_add_f64 v[10:11], v[16:17], -v[22:23]
	;; [unrolled: 4-line block ×4, first 2 shown]
	v_add_f64 v[30:31], v[30:31], -v[16:17]
	v_add_f64 v[32:33], v[32:33], -v[22:23]
	;; [unrolled: 1-line block ×4, first 2 shown]
	v_add_f64 v[38:39], v[6:7], v[4:5]
	v_add_f64 v[40:41], v[8:9], v[10:11]
	v_add_f64 v[42:43], v[6:7], -v[4:5]
	v_add_f64 v[44:45], v[8:9], -v[10:11]
	v_add_f64 v[16:17], v[16:17], v[18:19]
	v_add_f64 v[18:19], v[22:23], v[20:21]
	v_add_f64 v[4:5], v[4:5], -v[2:3]
	v_add_f64 v[10:11], v[10:11], -v[14:15]
	;; [unrolled: 1-line block ×4, first 2 shown]
	v_add_f64 v[20:21], v[38:39], v[2:3]
	v_add_f64 v[14:15], v[40:41], v[14:15]
	v_mul_f64 v[22:23], v[30:31], s[16:17]
	v_mul_f64 v[30:31], v[32:33], s[16:17]
	;; [unrolled: 1-line block ×6, first 2 shown]
	v_add_f64 v[0:1], v[0:1], v[16:17]
	v_add_f64 v[2:3], v[12:13], v[18:19]
	v_mul_f64 v[44:45], v[4:5], s[18:19]
	v_mul_f64 v[46:47], v[10:11], s[18:19]
	v_fma_f64 v[12:13], v[24:25], s[14:15], v[22:23]
	v_fma_f64 v[24:25], v[28:29], s[14:15], v[30:31]
	v_fma_f64 v[28:29], v[34:35], s[24:25], -v[32:33]
	v_fma_f64 v[32:33], v[36:37], s[24:25], -v[38:39]
	;; [unrolled: 1-line block ×4, first 2 shown]
	v_fma_f64 v[34:35], v[6:7], s[6:7], v[40:41]
	v_fma_f64 v[36:37], v[8:9], s[6:7], v[42:43]
	;; [unrolled: 1-line block ×4, first 2 shown]
	v_fma_f64 v[4:5], v[4:5], s[18:19], -v[40:41]
	v_fma_f64 v[6:7], v[6:7], s[20:21], -v[44:45]
	;; [unrolled: 1-line block ×4, first 2 shown]
	v_fma_f64 v[34:35], v[20:21], s[4:5], v[34:35]
	v_fma_f64 v[36:37], v[14:15], s[4:5], v[36:37]
	v_add_f64 v[44:45], v[12:13], v[16:17]
	v_add_f64 v[24:25], v[24:25], v[18:19]
	v_fma_f64 v[38:39], v[20:21], s[4:5], v[4:5]
	v_fma_f64 v[42:43], v[20:21], s[4:5], v[6:7]
	;; [unrolled: 1-line block ×3, first 2 shown]
	v_add_f64 v[22:23], v[22:23], v[16:17]
	v_add_f64 v[30:31], v[30:31], v[18:19]
	v_fma_f64 v[40:41], v[14:15], s[4:5], v[10:11]
	v_add_f64 v[16:17], v[28:29], v[16:17]
	v_add_f64 v[18:19], v[32:33], v[18:19]
	;; [unrolled: 1-line block ×3, first 2 shown]
	v_add_f64 v[6:7], v[24:25], -v[34:35]
	v_add_f64 v[28:29], v[44:45], -v[36:37]
	v_add_f64 v[8:9], v[20:21], v[22:23]
	v_add_f64 v[10:11], v[30:31], -v[42:43]
	v_add_f64 v[20:21], v[22:23], -v[20:21]
	;; [unrolled: 1-line block ×3, first 2 shown]
	v_add_f64 v[14:15], v[38:39], v[18:19]
	v_add_f64 v[16:17], v[40:41], v[16:17]
	v_add_f64 v[18:19], v[18:19], -v[38:39]
	v_add_f64 v[22:23], v[42:43], v[30:31]
	v_add_f64 v[30:31], v[34:35], v[24:25]
	v_add_co_u32_e32 v32, vcc, 0x2000, v50
	v_addc_co_u32_e32 v33, vcc, 0, v51, vcc
	global_store_dwordx4 v[50:51], v[0:3], off offset:896
	global_store_dwordx4 v[50:51], v[4:7], off offset:2432
	;; [unrolled: 1-line block ×7, first 2 shown]
.LBB0_18:
	s_endpgm
	.section	.rodata,"a",@progbits
	.p2align	6, 0x0
	.amdhsa_kernel fft_rtc_fwd_len672_factors_2_2_2_2_2_3_7_wgs_56_tpt_56_halfLds_dp_ip_CI_unitstride_sbrr_dirReg
		.amdhsa_group_segment_fixed_size 0
		.amdhsa_private_segment_fixed_size 0
		.amdhsa_kernarg_size 88
		.amdhsa_user_sgpr_count 6
		.amdhsa_user_sgpr_private_segment_buffer 1
		.amdhsa_user_sgpr_dispatch_ptr 0
		.amdhsa_user_sgpr_queue_ptr 0
		.amdhsa_user_sgpr_kernarg_segment_ptr 1
		.amdhsa_user_sgpr_dispatch_id 0
		.amdhsa_user_sgpr_flat_scratch_init 0
		.amdhsa_user_sgpr_private_segment_size 0
		.amdhsa_uses_dynamic_stack 0
		.amdhsa_system_sgpr_private_segment_wavefront_offset 0
		.amdhsa_system_sgpr_workgroup_id_x 1
		.amdhsa_system_sgpr_workgroup_id_y 0
		.amdhsa_system_sgpr_workgroup_id_z 0
		.amdhsa_system_sgpr_workgroup_info 0
		.amdhsa_system_vgpr_workitem_id 0
		.amdhsa_next_free_vgpr 120
		.amdhsa_next_free_sgpr 26
		.amdhsa_reserve_vcc 1
		.amdhsa_reserve_flat_scratch 0
		.amdhsa_float_round_mode_32 0
		.amdhsa_float_round_mode_16_64 0
		.amdhsa_float_denorm_mode_32 3
		.amdhsa_float_denorm_mode_16_64 3
		.amdhsa_dx10_clamp 1
		.amdhsa_ieee_mode 1
		.amdhsa_fp16_overflow 0
		.amdhsa_exception_fp_ieee_invalid_op 0
		.amdhsa_exception_fp_denorm_src 0
		.amdhsa_exception_fp_ieee_div_zero 0
		.amdhsa_exception_fp_ieee_overflow 0
		.amdhsa_exception_fp_ieee_underflow 0
		.amdhsa_exception_fp_ieee_inexact 0
		.amdhsa_exception_int_div_zero 0
	.end_amdhsa_kernel
	.text
.Lfunc_end0:
	.size	fft_rtc_fwd_len672_factors_2_2_2_2_2_3_7_wgs_56_tpt_56_halfLds_dp_ip_CI_unitstride_sbrr_dirReg, .Lfunc_end0-fft_rtc_fwd_len672_factors_2_2_2_2_2_3_7_wgs_56_tpt_56_halfLds_dp_ip_CI_unitstride_sbrr_dirReg
                                        ; -- End function
	.section	.AMDGPU.csdata,"",@progbits
; Kernel info:
; codeLenInByte = 8464
; NumSgprs: 30
; NumVgprs: 120
; ScratchSize: 0
; MemoryBound: 1
; FloatMode: 240
; IeeeMode: 1
; LDSByteSize: 0 bytes/workgroup (compile time only)
; SGPRBlocks: 3
; VGPRBlocks: 29
; NumSGPRsForWavesPerEU: 30
; NumVGPRsForWavesPerEU: 120
; Occupancy: 2
; WaveLimiterHint : 1
; COMPUTE_PGM_RSRC2:SCRATCH_EN: 0
; COMPUTE_PGM_RSRC2:USER_SGPR: 6
; COMPUTE_PGM_RSRC2:TRAP_HANDLER: 0
; COMPUTE_PGM_RSRC2:TGID_X_EN: 1
; COMPUTE_PGM_RSRC2:TGID_Y_EN: 0
; COMPUTE_PGM_RSRC2:TGID_Z_EN: 0
; COMPUTE_PGM_RSRC2:TIDIG_COMP_CNT: 0
	.type	__hip_cuid_ae7c313efdc38302,@object ; @__hip_cuid_ae7c313efdc38302
	.section	.bss,"aw",@nobits
	.globl	__hip_cuid_ae7c313efdc38302
__hip_cuid_ae7c313efdc38302:
	.byte	0                               ; 0x0
	.size	__hip_cuid_ae7c313efdc38302, 1

	.ident	"AMD clang version 19.0.0git (https://github.com/RadeonOpenCompute/llvm-project roc-6.4.0 25133 c7fe45cf4b819c5991fe208aaa96edf142730f1d)"
	.section	".note.GNU-stack","",@progbits
	.addrsig
	.addrsig_sym __hip_cuid_ae7c313efdc38302
	.amdgpu_metadata
---
amdhsa.kernels:
  - .args:
      - .actual_access:  read_only
        .address_space:  global
        .offset:         0
        .size:           8
        .value_kind:     global_buffer
      - .offset:         8
        .size:           8
        .value_kind:     by_value
      - .actual_access:  read_only
        .address_space:  global
        .offset:         16
        .size:           8
        .value_kind:     global_buffer
      - .actual_access:  read_only
        .address_space:  global
        .offset:         24
        .size:           8
        .value_kind:     global_buffer
      - .offset:         32
        .size:           8
        .value_kind:     by_value
      - .actual_access:  read_only
        .address_space:  global
        .offset:         40
        .size:           8
        .value_kind:     global_buffer
      - .actual_access:  read_only
        .address_space:  global
        .offset:         48
        .size:           8
        .value_kind:     global_buffer
      - .offset:         56
        .size:           4
        .value_kind:     by_value
      - .actual_access:  read_only
        .address_space:  global
        .offset:         64
        .size:           8
        .value_kind:     global_buffer
      - .actual_access:  read_only
        .address_space:  global
        .offset:         72
        .size:           8
        .value_kind:     global_buffer
      - .address_space:  global
        .offset:         80
        .size:           8
        .value_kind:     global_buffer
    .group_segment_fixed_size: 0
    .kernarg_segment_align: 8
    .kernarg_segment_size: 88
    .language:       OpenCL C
    .language_version:
      - 2
      - 0
    .max_flat_workgroup_size: 56
    .name:           fft_rtc_fwd_len672_factors_2_2_2_2_2_3_7_wgs_56_tpt_56_halfLds_dp_ip_CI_unitstride_sbrr_dirReg
    .private_segment_fixed_size: 0
    .sgpr_count:     30
    .sgpr_spill_count: 0
    .symbol:         fft_rtc_fwd_len672_factors_2_2_2_2_2_3_7_wgs_56_tpt_56_halfLds_dp_ip_CI_unitstride_sbrr_dirReg.kd
    .uniform_work_group_size: 1
    .uses_dynamic_stack: false
    .vgpr_count:     120
    .vgpr_spill_count: 0
    .wavefront_size: 64
amdhsa.target:   amdgcn-amd-amdhsa--gfx906
amdhsa.version:
  - 1
  - 2
...

	.end_amdgpu_metadata
